;; amdgpu-corpus repo=ROCm/rocFFT kind=compiled arch=gfx906 opt=O3
	.text
	.amdgcn_target "amdgcn-amd-amdhsa--gfx906"
	.amdhsa_code_object_version 6
	.protected	fft_rtc_fwd_len160_factors_16_10_wgs_256_tpt_16_halfLds_sp_op_CI_CI_unitstride_sbrr_R2C_dirReg ; -- Begin function fft_rtc_fwd_len160_factors_16_10_wgs_256_tpt_16_halfLds_sp_op_CI_CI_unitstride_sbrr_R2C_dirReg
	.globl	fft_rtc_fwd_len160_factors_16_10_wgs_256_tpt_16_halfLds_sp_op_CI_CI_unitstride_sbrr_R2C_dirReg
	.p2align	8
	.type	fft_rtc_fwd_len160_factors_16_10_wgs_256_tpt_16_halfLds_sp_op_CI_CI_unitstride_sbrr_R2C_dirReg,@function
fft_rtc_fwd_len160_factors_16_10_wgs_256_tpt_16_halfLds_sp_op_CI_CI_unitstride_sbrr_R2C_dirReg: ; @fft_rtc_fwd_len160_factors_16_10_wgs_256_tpt_16_halfLds_sp_op_CI_CI_unitstride_sbrr_R2C_dirReg
; %bb.0:
	s_load_dwordx4 s[8:11], s[4:5], 0x58
	s_load_dwordx4 s[12:15], s[4:5], 0x0
	;; [unrolled: 1-line block ×3, first 2 shown]
	v_lshrrev_b32_e32 v7, 4, v0
	v_mov_b32_e32 v3, 0
	v_mov_b32_e32 v1, 0
	s_waitcnt lgkmcnt(0)
	v_cmp_lt_u64_e64 s[0:1], s[14:15], 2
	v_lshl_or_b32 v5, s6, 4, v7
	v_mov_b32_e32 v6, v3
	s_and_b64 vcc, exec, s[0:1]
	v_mov_b32_e32 v2, 0
	s_cbranch_vccnz .LBB0_8
; %bb.1:
	s_load_dwordx2 s[0:1], s[4:5], 0x10
	s_add_u32 s2, s18, 8
	s_addc_u32 s3, s19, 0
	s_add_u32 s6, s16, 8
	v_mov_b32_e32 v1, 0
	s_addc_u32 s7, s17, 0
	v_mov_b32_e32 v2, 0
	s_waitcnt lgkmcnt(0)
	s_add_u32 s20, s0, 8
	v_mov_b32_e32 v29, v2
	s_addc_u32 s21, s1, 0
	s_mov_b64 s[22:23], 1
	v_mov_b32_e32 v28, v1
.LBB0_2:                                ; =>This Inner Loop Header: Depth=1
	s_load_dwordx2 s[24:25], s[20:21], 0x0
                                        ; implicit-def: $vgpr30_vgpr31
	s_waitcnt lgkmcnt(0)
	v_or_b32_e32 v4, s25, v6
	v_cmp_ne_u64_e32 vcc, 0, v[3:4]
	s_and_saveexec_b64 s[0:1], vcc
	s_xor_b64 s[26:27], exec, s[0:1]
	s_cbranch_execz .LBB0_4
; %bb.3:                                ;   in Loop: Header=BB0_2 Depth=1
	v_cvt_f32_u32_e32 v4, s24
	v_cvt_f32_u32_e32 v8, s25
	s_sub_u32 s0, 0, s24
	s_subb_u32 s1, 0, s25
	v_mac_f32_e32 v4, 0x4f800000, v8
	v_rcp_f32_e32 v4, v4
	v_mul_f32_e32 v4, 0x5f7ffffc, v4
	v_mul_f32_e32 v8, 0x2f800000, v4
	v_trunc_f32_e32 v8, v8
	v_mac_f32_e32 v4, 0xcf800000, v8
	v_cvt_u32_f32_e32 v8, v8
	v_cvt_u32_f32_e32 v4, v4
	v_mul_lo_u32 v9, s0, v8
	v_mul_hi_u32 v10, s0, v4
	v_mul_lo_u32 v12, s1, v4
	v_mul_lo_u32 v11, s0, v4
	v_add_u32_e32 v9, v10, v9
	v_add_u32_e32 v9, v9, v12
	v_mul_hi_u32 v10, v4, v11
	v_mul_lo_u32 v12, v4, v9
	v_mul_hi_u32 v14, v4, v9
	v_mul_hi_u32 v13, v8, v11
	v_mul_lo_u32 v11, v8, v11
	v_mul_hi_u32 v15, v8, v9
	v_add_co_u32_e32 v10, vcc, v10, v12
	v_addc_co_u32_e32 v12, vcc, 0, v14, vcc
	v_mul_lo_u32 v9, v8, v9
	v_add_co_u32_e32 v10, vcc, v10, v11
	v_addc_co_u32_e32 v10, vcc, v12, v13, vcc
	v_addc_co_u32_e32 v11, vcc, 0, v15, vcc
	v_add_co_u32_e32 v9, vcc, v10, v9
	v_addc_co_u32_e32 v10, vcc, 0, v11, vcc
	v_add_co_u32_e32 v4, vcc, v4, v9
	v_addc_co_u32_e32 v8, vcc, v8, v10, vcc
	v_mul_lo_u32 v9, s0, v8
	v_mul_hi_u32 v10, s0, v4
	v_mul_lo_u32 v11, s1, v4
	v_mul_lo_u32 v12, s0, v4
	v_add_u32_e32 v9, v10, v9
	v_add_u32_e32 v9, v9, v11
	v_mul_lo_u32 v13, v4, v9
	v_mul_hi_u32 v14, v4, v12
	v_mul_hi_u32 v15, v4, v9
	v_mul_hi_u32 v11, v8, v12
	v_mul_lo_u32 v12, v8, v12
	v_mul_hi_u32 v10, v8, v9
	v_add_co_u32_e32 v13, vcc, v14, v13
	v_addc_co_u32_e32 v14, vcc, 0, v15, vcc
	v_mul_lo_u32 v9, v8, v9
	v_add_co_u32_e32 v12, vcc, v13, v12
	v_addc_co_u32_e32 v11, vcc, v14, v11, vcc
	v_addc_co_u32_e32 v10, vcc, 0, v10, vcc
	v_add_co_u32_e32 v9, vcc, v11, v9
	v_addc_co_u32_e32 v10, vcc, 0, v10, vcc
	v_add_co_u32_e32 v4, vcc, v4, v9
	v_addc_co_u32_e32 v10, vcc, v8, v10, vcc
	v_mad_u64_u32 v[8:9], s[0:1], v5, v10, 0
	v_mul_hi_u32 v11, v5, v4
	v_add_co_u32_e32 v12, vcc, v11, v8
	v_addc_co_u32_e32 v13, vcc, 0, v9, vcc
	v_mad_u64_u32 v[8:9], s[0:1], v6, v4, 0
	v_mad_u64_u32 v[10:11], s[0:1], v6, v10, 0
	v_add_co_u32_e32 v4, vcc, v12, v8
	v_addc_co_u32_e32 v4, vcc, v13, v9, vcc
	v_addc_co_u32_e32 v8, vcc, 0, v11, vcc
	v_add_co_u32_e32 v4, vcc, v4, v10
	v_addc_co_u32_e32 v10, vcc, 0, v8, vcc
	v_mul_lo_u32 v11, s25, v4
	v_mul_lo_u32 v12, s24, v10
	v_mad_u64_u32 v[8:9], s[0:1], s24, v4, 0
	v_add3_u32 v9, v9, v12, v11
	v_sub_u32_e32 v11, v6, v9
	v_mov_b32_e32 v12, s25
	v_sub_co_u32_e32 v8, vcc, v5, v8
	v_subb_co_u32_e64 v11, s[0:1], v11, v12, vcc
	v_subrev_co_u32_e64 v12, s[0:1], s24, v8
	v_subbrev_co_u32_e64 v11, s[0:1], 0, v11, s[0:1]
	v_cmp_le_u32_e64 s[0:1], s25, v11
	v_cndmask_b32_e64 v13, 0, -1, s[0:1]
	v_cmp_le_u32_e64 s[0:1], s24, v12
	v_cndmask_b32_e64 v12, 0, -1, s[0:1]
	v_cmp_eq_u32_e64 s[0:1], s25, v11
	v_cndmask_b32_e64 v11, v13, v12, s[0:1]
	v_add_co_u32_e64 v12, s[0:1], 2, v4
	v_addc_co_u32_e64 v13, s[0:1], 0, v10, s[0:1]
	v_add_co_u32_e64 v14, s[0:1], 1, v4
	v_addc_co_u32_e64 v15, s[0:1], 0, v10, s[0:1]
	v_subb_co_u32_e32 v9, vcc, v6, v9, vcc
	v_cmp_ne_u32_e64 s[0:1], 0, v11
	v_cmp_le_u32_e32 vcc, s25, v9
	v_cndmask_b32_e64 v11, v15, v13, s[0:1]
	v_cndmask_b32_e64 v13, 0, -1, vcc
	v_cmp_le_u32_e32 vcc, s24, v8
	v_cndmask_b32_e64 v8, 0, -1, vcc
	v_cmp_eq_u32_e32 vcc, s25, v9
	v_cndmask_b32_e32 v8, v13, v8, vcc
	v_cmp_ne_u32_e32 vcc, 0, v8
	v_cndmask_b32_e64 v8, v14, v12, s[0:1]
	v_cndmask_b32_e32 v31, v10, v11, vcc
	v_cndmask_b32_e32 v30, v4, v8, vcc
.LBB0_4:                                ;   in Loop: Header=BB0_2 Depth=1
	s_andn2_saveexec_b64 s[0:1], s[26:27]
	s_cbranch_execz .LBB0_6
; %bb.5:                                ;   in Loop: Header=BB0_2 Depth=1
	v_cvt_f32_u32_e32 v4, s24
	s_sub_i32 s26, 0, s24
	v_mov_b32_e32 v31, v3
	v_rcp_iflag_f32_e32 v4, v4
	v_mul_f32_e32 v4, 0x4f7ffffe, v4
	v_cvt_u32_f32_e32 v4, v4
	v_mul_lo_u32 v8, s26, v4
	v_mul_hi_u32 v8, v4, v8
	v_add_u32_e32 v4, v4, v8
	v_mul_hi_u32 v4, v5, v4
	v_mul_lo_u32 v8, v4, s24
	v_add_u32_e32 v9, 1, v4
	v_sub_u32_e32 v8, v5, v8
	v_subrev_u32_e32 v10, s24, v8
	v_cmp_le_u32_e32 vcc, s24, v8
	v_cndmask_b32_e32 v8, v8, v10, vcc
	v_cndmask_b32_e32 v4, v4, v9, vcc
	v_add_u32_e32 v9, 1, v4
	v_cmp_le_u32_e32 vcc, s24, v8
	v_cndmask_b32_e32 v30, v4, v9, vcc
.LBB0_6:                                ;   in Loop: Header=BB0_2 Depth=1
	s_or_b64 exec, exec, s[0:1]
	v_mul_lo_u32 v4, v31, s24
	v_mul_lo_u32 v10, v30, s25
	v_mad_u64_u32 v[8:9], s[0:1], v30, s24, 0
	s_load_dwordx2 s[0:1], s[6:7], 0x0
	s_load_dwordx2 s[24:25], s[2:3], 0x0
	v_add3_u32 v4, v9, v10, v4
	v_sub_co_u32_e32 v5, vcc, v5, v8
	v_subb_co_u32_e32 v4, vcc, v6, v4, vcc
	s_waitcnt lgkmcnt(0)
	v_mul_lo_u32 v6, s0, v4
	v_mul_lo_u32 v8, s1, v5
	v_mad_u64_u32 v[1:2], s[0:1], s0, v5, v[1:2]
	v_mul_lo_u32 v4, s24, v4
	v_mul_lo_u32 v9, s25, v5
	v_mad_u64_u32 v[28:29], s[0:1], s24, v5, v[28:29]
	s_add_u32 s22, s22, 1
	s_addc_u32 s23, s23, 0
	s_add_u32 s2, s2, 8
	v_add3_u32 v29, v9, v29, v4
	s_addc_u32 s3, s3, 0
	v_mov_b32_e32 v4, s14
	s_add_u32 s6, s6, 8
	v_mov_b32_e32 v5, s15
	s_addc_u32 s7, s7, 0
	v_cmp_ge_u64_e32 vcc, s[22:23], v[4:5]
	s_add_u32 s20, s20, 8
	v_add3_u32 v2, v8, v2, v6
	s_addc_u32 s21, s21, 0
	s_cbranch_vccnz .LBB0_9
; %bb.7:                                ;   in Loop: Header=BB0_2 Depth=1
	v_mov_b32_e32 v5, v30
	v_mov_b32_e32 v6, v31
	s_branch .LBB0_2
.LBB0_8:
	v_mov_b32_e32 v29, v2
	v_mov_b32_e32 v31, v6
	;; [unrolled: 1-line block ×4, first 2 shown]
.LBB0_9:
	s_load_dwordx2 s[0:1], s[4:5], 0x28
	s_lshl_b64 s[6:7], s[14:15], 3
	s_add_u32 s2, s18, s6
	s_addc_u32 s3, s19, s7
	v_and_b32_e32 v32, 15, v0
	s_waitcnt lgkmcnt(0)
	v_cmp_gt_u64_e32 vcc, s[0:1], v[30:31]
	v_cmp_le_u64_e64 s[0:1], s[0:1], v[30:31]
                                        ; implicit-def: $vgpr33
	s_and_saveexec_b64 s[4:5], s[0:1]
	s_xor_b64 s[0:1], exec, s[4:5]
; %bb.10:
	v_and_b32_e32 v33, 15, v0
                                        ; implicit-def: $vgpr1_vgpr2
                                        ; implicit-def: $vgpr32
; %bb.11:
	s_or_saveexec_b64 s[4:5], s[0:1]
	v_mul_u32_u24_e32 v0, 0xa1, v7
	v_lshlrev_b32_e32 v42, 3, v0
	s_xor_b64 exec, exec, s[4:5]
	s_cbranch_execz .LBB0_13
; %bb.12:
	s_add_u32 s0, s16, s6
	s_addc_u32 s1, s17, s7
	s_load_dwordx2 s[0:1], s[0:1], 0x0
	v_lshlrev_b64 v[0:1], 3, v[1:2]
	v_mov_b32_e32 v7, s9
	v_lshlrev_b32_e32 v22, 3, v32
	v_mov_b32_e32 v33, v32
	s_waitcnt lgkmcnt(0)
	v_mul_lo_u32 v5, s1, v30
	v_mul_lo_u32 v6, s0, v31
	v_mad_u64_u32 v[3:4], s[0:1], s0, v30, 0
	v_add3_u32 v4, v4, v6, v5
	v_lshlrev_b64 v[2:3], 3, v[3:4]
	v_add_co_u32_e64 v2, s[0:1], s8, v2
	v_addc_co_u32_e64 v3, s[0:1], v7, v3, s[0:1]
	v_add_co_u32_e64 v0, s[0:1], v2, v0
	v_addc_co_u32_e64 v1, s[0:1], v3, v1, s[0:1]
	;; [unrolled: 2-line block ×3, first 2 shown]
	global_load_dwordx2 v[2:3], v[0:1], off
	global_load_dwordx2 v[4:5], v[0:1], off offset:128
	global_load_dwordx2 v[6:7], v[0:1], off offset:256
	;; [unrolled: 1-line block ×9, first 2 shown]
	v_add3_u32 v0, 0, v42, v22
	s_waitcnt vmcnt(8)
	ds_write2_b64 v0, v[2:3], v[4:5] offset1:16
	s_waitcnt vmcnt(6)
	ds_write2_b64 v0, v[6:7], v[8:9] offset0:32 offset1:48
	s_waitcnt vmcnt(4)
	ds_write2_b64 v0, v[10:11], v[12:13] offset0:64 offset1:80
	;; [unrolled: 2-line block ×4, first 2 shown]
.LBB0_13:
	s_or_b64 exec, exec, s[4:5]
	v_lshlrev_b32_e32 v40, 3, v33
	v_add_u32_e32 v38, 0, v42
	v_add3_u32 v41, 0, v40, v42
	s_waitcnt lgkmcnt(0)
	s_barrier
	v_add_u32_e32 v39, v38, v40
	ds_read2_b64 v[0:3], v41 offset0:10 offset1:20
	ds_read2_b64 v[4:7], v41 offset0:30 offset1:40
	ds_read_b64 v[34:35], v39
	ds_read_b64 v[36:37], v41 offset:1200
	ds_read2_b64 v[8:11], v41 offset0:50 offset1:60
	ds_read2_b64 v[16:19], v41 offset0:70 offset1:80
	;; [unrolled: 1-line block ×5, first 2 shown]
	v_cmp_gt_u32_e64 s[0:1], 10, v33
	s_waitcnt lgkmcnt(0)
	s_barrier
	s_and_saveexec_b64 s[4:5], s[0:1]
	s_cbranch_execz .LBB0_15
; %bb.14:
	v_sub_f32_e32 v22, v2, v22
	v_sub_f32_e32 v19, v35, v19
	;; [unrolled: 1-line block ×8, first 2 shown]
	v_fma_f32 v43, v6, 2.0, -v14
	v_fma_f32 v6, v2, 2.0, -v22
	v_add_f32_e32 v2, v19, v14
	v_sub_f32_e32 v27, v11, v27
	v_sub_f32_e32 v25, v9, v25
	;; [unrolled: 1-line block ×3, first 2 shown]
	v_fma_f32 v7, v7, 2.0, -v15
	v_fma_f32 v45, v1, 2.0, -v21
	;; [unrolled: 1-line block ×3, first 2 shown]
	v_add_f32_e32 v1, v23, v26
	v_mov_b32_e32 v3, v2
	v_sub_f32_e32 v15, v18, v15
	v_sub_f32_e32 v24, v8, v24
	;; [unrolled: 1-line block ×4, first 2 shown]
	v_fma_f32 v44, v0, 2.0, -v20
	v_fma_f32 v9, v9, 2.0, -v25
	;; [unrolled: 1-line block ×3, first 2 shown]
	v_sub_f32_e32 v0, v22, v27
	v_fmac_f32_e32 v3, 0x3f3504f3, v1
	v_sub_f32_e32 v25, v20, v25
	v_fma_f32 v27, v34, 2.0, -v18
	v_mov_b32_e32 v34, v15
	v_sub_f32_e32 v36, v16, v36
	v_sub_f32_e32 v13, v5, v13
	v_fma_f32 v8, v8, 2.0, -v24
	v_fmac_f32_e32 v3, 0x3f3504f3, v0
	v_sub_f32_e32 v14, v12, v37
	v_fmac_f32_e32 v34, 0x3f3504f3, v0
	v_fma_f32 v0, v22, 2.0, -v0
	v_mov_b32_e32 v22, v25
	v_add_f32_e32 v24, v21, v24
	v_fma_f32 v47, v18, 2.0, -v15
	v_fma_f32 v10, v10, 2.0, -v26
	v_fma_f32 v26, v35, 2.0, -v19
	v_fmac_f32_e32 v22, 0x3f3504f3, v14
	v_add_f32_e32 v35, v13, v36
	v_fmac_f32_e32 v34, 0xbf3504f3, v1
	v_fma_f32 v1, v23, 2.0, -v1
	v_mov_b32_e32 v23, v24
	v_fma_f32 v19, v19, 2.0, -v2
	v_fma_f32 v21, v21, 2.0, -v24
	v_mov_b32_e32 v48, v47
	v_fma_f32 v17, v17, 2.0, -v37
	v_fma_f32 v5, v5, 2.0, -v13
	v_fmac_f32_e32 v22, 0xbf3504f3, v35
	v_fmac_f32_e32 v23, 0x3f3504f3, v35
	v_fma_f32 v20, v20, 2.0, -v25
	v_fma_f32 v13, v13, 2.0, -v35
	v_mov_b32_e32 v35, v21
	v_mov_b32_e32 v37, v19
	v_fmac_f32_e32 v48, 0xbf3504f3, v0
	v_sub_f32_e32 v10, v6, v10
	v_fma_f32 v16, v16, 2.0, -v36
	v_fma_f32 v4, v4, 2.0, -v12
	v_fmac_f32_e32 v23, 0x3f3504f3, v14
	v_fma_f32 v12, v12, 2.0, -v14
	v_mov_b32_e32 v36, v20
	v_fmac_f32_e32 v35, 0xbf3504f3, v13
	v_fmac_f32_e32 v37, 0xbf3504f3, v1
	;; [unrolled: 1-line block ×3, first 2 shown]
	v_mov_b32_e32 v1, v3
	v_fma_f32 v49, v6, 2.0, -v10
	v_sub_f32_e32 v6, v5, v17
	v_fmac_f32_e32 v36, 0xbf3504f3, v12
	v_fmac_f32_e32 v37, 0x3f3504f3, v0
	;; [unrolled: 1-line block ×4, first 2 shown]
	v_mov_b32_e32 v0, v34
	v_fma_f32 v12, v2, 2.0, -v3
	v_sub_f32_e32 v18, v44, v8
	v_fma_f32 v50, v5, 2.0, -v6
	v_sub_f32_e32 v5, v4, v16
	v_sub_f32_e32 v16, v45, v9
	v_fma_f32 v8, v15, 2.0, -v34
	v_fmac_f32_e32 v36, 0xbf3504f3, v13
	v_fmac_f32_e32 v1, 0x3ec3ef15, v22
	;; [unrolled: 1-line block ×3, first 2 shown]
	v_fma_f32 v13, v25, 2.0, -v22
	v_sub_f32_e32 v17, v18, v6
	v_fma_f32 v22, v4, 2.0, -v5
	v_add_f32_e32 v25, v16, v5
	v_fma_f32 v6, v24, 2.0, -v23
	v_mov_b32_e32 v5, v12
	v_mov_b32_e32 v4, v8
	v_fmac_f32_e32 v5, 0xbec3ef15, v6
	v_fmac_f32_e32 v4, 0xbec3ef15, v13
	;; [unrolled: 1-line block ×4, first 2 shown]
	v_sub_f32_e32 v14, v26, v7
	v_fma_f32 v7, v12, 2.0, -v5
	v_fma_f32 v6, v8, 2.0, -v4
	v_sub_f32_e32 v12, v27, v43
	v_sub_f32_e32 v8, v46, v11
	v_add_f32_e32 v10, v14, v10
	v_sub_f32_e32 v13, v12, v8
	v_fmac_f32_e32 v0, 0xbec3ef15, v23
	v_mov_b32_e32 v9, v10
	v_fma_f32 v23, v46, 2.0, -v8
	v_mov_b32_e32 v8, v13
	v_fmac_f32_e32 v9, 0x3f3504f3, v25
	v_fmac_f32_e32 v8, 0x3f3504f3, v17
	;; [unrolled: 1-line block ×3, first 2 shown]
	v_fma_f32 v26, v26, 2.0, -v14
	v_fma_f32 v14, v14, 2.0, -v10
	;; [unrolled: 1-line block ×3, first 2 shown]
	v_fmac_f32_e32 v8, 0xbf3504f3, v25
	v_fma_f32 v17, v12, 2.0, -v13
	v_fma_f32 v11, v10, 2.0, -v9
	;; [unrolled: 1-line block ×6, first 2 shown]
	v_mov_b32_e32 v13, v14
	v_mov_b32_e32 v12, v17
	v_fmac_f32_e32 v13, 0xbf3504f3, v16
	v_fmac_f32_e32 v12, 0xbf3504f3, v15
	;; [unrolled: 1-line block ×4, first 2 shown]
	v_fma_f32 v15, v14, 2.0, -v13
	v_fma_f32 v14, v17, 2.0, -v12
	v_mov_b32_e32 v17, v37
	v_fmac_f32_e32 v17, 0x3ec3ef15, v35
	v_mov_b32_e32 v16, v48
	v_fma_f32 v2, v34, 2.0, -v0
	v_fma_f32 v34, v44, 2.0, -v18
	v_fmac_f32_e32 v17, 0x3f6c835e, v36
	v_fmac_f32_e32 v16, 0x3ec3ef15, v36
	v_fma_f32 v24, v19, 2.0, -v37
	v_fma_f32 v19, v37, 2.0, -v17
	v_fmac_f32_e32 v16, 0xbf6c835e, v35
	v_sub_f32_e32 v37, v34, v22
	v_fma_f32 v22, v21, 2.0, -v35
	v_fma_f32 v35, v47, 2.0, -v48
	v_fma_f32 v25, v20, 2.0, -v36
	v_mov_b32_e32 v20, v35
	v_mov_b32_e32 v21, v24
	v_fmac_f32_e32 v20, 0xbf6c835e, v25
	v_sub_f32_e32 v36, v26, v23
	v_fmac_f32_e32 v21, 0xbf6c835e, v22
	v_fmac_f32_e32 v20, 0xbec3ef15, v22
	v_fmac_f32_e32 v21, 0x3ec3ef15, v25
	v_fma_f32 v22, v35, 2.0, -v20
	v_add_f32_e32 v25, v36, v37
	v_sub_f32_e32 v35, v43, v49
	v_sub_f32_e32 v44, v27, v50
	v_fma_f32 v23, v24, 2.0, -v21
	v_sub_f32_e32 v24, v35, v44
	v_fma_f32 v45, v26, 2.0, -v36
	v_fma_f32 v44, v27, 2.0, -v44
	;; [unrolled: 1-line block ×6, first 2 shown]
	v_sub_f32_e32 v35, v45, v44
	v_sub_f32_e32 v34, v36, v34
	v_lshlrev_b32_e32 v43, 7, v33
	v_fma_f32 v37, v45, 2.0, -v35
	v_fma_f32 v36, v36, 2.0, -v34
	v_add3_u32 v42, 0, v43, v42
	v_fma_f32 v3, v3, 2.0, -v1
	v_fma_f32 v18, v48, 2.0, -v16
	ds_write2_b64 v42, v[36:37], v[22:23] offset1:1
	ds_write2_b64 v42, v[14:15], v[6:7] offset0:2 offset1:3
	ds_write2_b64 v42, v[26:27], v[18:19] offset0:4 offset1:5
	;; [unrolled: 1-line block ×7, first 2 shown]
.LBB0_15:
	s_or_b64 exec, exec, s[4:5]
	v_mul_u32_u24_e32 v0, 9, v33
	v_lshlrev_b32_e32 v16, 3, v0
	s_load_dwordx2 s[2:3], s[2:3], 0x0
	s_waitcnt lgkmcnt(0)
	s_barrier
	global_load_dwordx4 v[0:3], v16, s[12:13]
	global_load_dwordx4 v[4:7], v16, s[12:13] offset:16
	global_load_dwordx4 v[8:11], v16, s[12:13] offset:32
	global_load_dwordx4 v[12:15], v16, s[12:13] offset:48
	global_load_dwordx2 v[42:43], v16, s[12:13] offset:64
	ds_read2_b64 v[16:19], v41 offset0:16 offset1:32
	ds_read2_b64 v[20:23], v41 offset0:48 offset1:64
	;; [unrolled: 1-line block ×4, first 2 shown]
	s_mov_b32 s5, 0x3f737871
	s_mov_b32 s4, 0x3f167918
	;; [unrolled: 1-line block ×4, first 2 shown]
	s_waitcnt vmcnt(4) lgkmcnt(3)
	v_mul_f32_e32 v44, v1, v17
	v_mul_f32_e32 v45, v1, v16
	;; [unrolled: 1-line block ×4, first 2 shown]
	v_fma_f32 v16, v0, v16, -v44
	v_fmac_f32_e32 v45, v0, v17
	v_fma_f32 v17, v2, v18, -v1
	v_fmac_f32_e32 v46, v2, v19
	ds_read_b64 v[0:1], v39
	ds_read_b64 v[2:3], v41 offset:1152
	s_waitcnt vmcnt(3) lgkmcnt(4)
	v_mul_f32_e32 v18, v5, v21
	v_mul_f32_e32 v5, v5, v20
	;; [unrolled: 1-line block ×4, first 2 shown]
	v_fma_f32 v18, v4, v20, -v18
	v_fmac_f32_e32 v5, v4, v21
	v_fma_f32 v4, v6, v22, -v19
	v_fmac_f32_e32 v7, v6, v23
	s_waitcnt vmcnt(2) lgkmcnt(3)
	v_mul_f32_e32 v6, v9, v25
	v_mul_f32_e32 v9, v9, v24
	;; [unrolled: 1-line block ×4, first 2 shown]
	s_waitcnt vmcnt(1) lgkmcnt(2)
	v_mul_f32_e32 v20, v35, v13
	v_mul_f32_e32 v13, v34, v13
	;; [unrolled: 1-line block ×3, first 2 shown]
	v_fma_f32 v6, v8, v24, -v6
	v_fmac_f32_e32 v9, v8, v25
	v_fma_f32 v8, v26, v10, -v19
	v_fmac_f32_e32 v11, v27, v10
	s_waitcnt vmcnt(0) lgkmcnt(0)
	v_mul_f32_e32 v10, v3, v43
	v_fma_f32 v20, v34, v12, -v20
	v_fmac_f32_e32 v13, v35, v12
	v_fma_f32 v12, v36, v14, -v21
	v_mul_f32_e32 v19, v2, v43
	v_fma_f32 v2, v2, v42, -v10
	v_add_f32_e32 v10, v4, v8
	v_add_f32_e32 v24, v17, v12
	v_mul_f32_e32 v15, v36, v15
	v_fmac_f32_e32 v19, v3, v42
	v_add_f32_e32 v3, v0, v17
	v_sub_f32_e32 v22, v17, v4
	v_sub_f32_e32 v23, v12, v8
	;; [unrolled: 1-line block ×4, first 2 shown]
	v_fma_f32 v34, -0.5, v10, v0
	v_fma_f32 v0, -0.5, v24, v0
	v_fmac_f32_e32 v15, v37, v14
	v_sub_f32_e32 v21, v7, v11
	v_add_f32_e32 v3, v3, v4
	v_add_f32_e32 v10, v22, v23
	v_add_f32_e32 v22, v25, v26
	v_mov_b32_e32 v25, v0
	v_sub_f32_e32 v14, v46, v15
	v_add_f32_e32 v3, v3, v8
	v_fmac_f32_e32 v0, 0x3f737871, v21
	v_fmac_f32_e32 v25, 0xbf737871, v21
	v_mov_b32_e32 v24, v34
	v_add_f32_e32 v26, v3, v12
	v_fmac_f32_e32 v0, 0xbf167918, v14
	v_fmac_f32_e32 v25, 0x3f167918, v14
	v_add_f32_e32 v3, v7, v11
	v_fmac_f32_e32 v34, 0xbf737871, v14
	v_fmac_f32_e32 v24, 0x3f737871, v14
	;; [unrolled: 1-line block ×4, first 2 shown]
	v_fma_f32 v22, -0.5, v3, v1
	v_fmac_f32_e32 v34, 0xbf167918, v21
	v_fmac_f32_e32 v24, 0x3f167918, v21
	v_sub_f32_e32 v3, v17, v12
	v_mov_b32_e32 v17, v22
	v_fmac_f32_e32 v34, 0x3e9e377a, v10
	v_fmac_f32_e32 v24, 0x3e9e377a, v10
	;; [unrolled: 1-line block ×3, first 2 shown]
	v_sub_f32_e32 v4, v4, v8
	v_sub_f32_e32 v8, v46, v7
	;; [unrolled: 1-line block ×3, first 2 shown]
	v_fmac_f32_e32 v22, 0x3f737871, v3
	v_add_f32_e32 v27, v1, v46
	v_fmac_f32_e32 v17, 0xbf167918, v4
	v_add_f32_e32 v8, v8, v10
	;; [unrolled: 2-line block ×3, first 2 shown]
	v_fmac_f32_e32 v17, 0x3e9e377a, v8
	v_fmac_f32_e32 v22, 0x3e9e377a, v8
	v_add_f32_e32 v8, v46, v15
	v_add_f32_e32 v23, v23, v11
	v_fmac_f32_e32 v1, -0.5, v8
	v_add_f32_e32 v21, v23, v15
	v_mov_b32_e32 v23, v1
	v_fmac_f32_e32 v23, 0x3f737871, v4
	v_fmac_f32_e32 v1, 0xbf737871, v4
	;; [unrolled: 1-line block ×4, first 2 shown]
	v_add_f32_e32 v3, v16, v18
	v_add_f32_e32 v3, v3, v6
	v_add_f32_e32 v3, v3, v20
	v_sub_f32_e32 v7, v7, v46
	v_sub_f32_e32 v8, v11, v15
	v_add_f32_e32 v12, v3, v2
	v_add_f32_e32 v3, v6, v20
	;; [unrolled: 1-line block ×3, first 2 shown]
	v_fma_f32 v3, -0.5, v3, v16
	v_fmac_f32_e32 v23, 0x3e9e377a, v7
	v_fmac_f32_e32 v1, 0x3e9e377a, v7
	v_sub_f32_e32 v4, v5, v19
	v_mov_b32_e32 v7, v3
	v_fmac_f32_e32 v7, 0x3f737871, v4
	v_sub_f32_e32 v8, v9, v13
	v_sub_f32_e32 v10, v18, v6
	;; [unrolled: 1-line block ×3, first 2 shown]
	v_fmac_f32_e32 v3, 0xbf737871, v4
	v_fmac_f32_e32 v7, 0x3f167918, v8
	v_add_f32_e32 v10, v10, v11
	v_fmac_f32_e32 v3, 0xbf167918, v8
	v_fmac_f32_e32 v7, 0x3e9e377a, v10
	;; [unrolled: 1-line block ×3, first 2 shown]
	v_add_f32_e32 v10, v18, v2
	v_fmac_f32_e32 v16, -0.5, v10
	v_mov_b32_e32 v10, v16
	v_fmac_f32_e32 v10, 0xbf737871, v8
	v_fmac_f32_e32 v16, 0x3f737871, v8
	;; [unrolled: 1-line block ×4, first 2 shown]
	v_add_f32_e32 v4, v45, v5
	v_add_f32_e32 v4, v4, v9
	v_sub_f32_e32 v11, v6, v18
	v_sub_f32_e32 v14, v20, v2
	v_add_f32_e32 v4, v4, v13
	v_add_f32_e32 v11, v11, v14
	;; [unrolled: 1-line block ×4, first 2 shown]
	v_fmac_f32_e32 v10, 0x3e9e377a, v11
	v_fmac_f32_e32 v16, 0x3e9e377a, v11
	v_fma_f32 v11, -0.5, v4, v45
	v_sub_f32_e32 v2, v18, v2
	v_mov_b32_e32 v8, v11
	v_fmac_f32_e32 v8, 0xbf737871, v2
	v_sub_f32_e32 v4, v6, v20
	v_sub_f32_e32 v6, v5, v9
	;; [unrolled: 1-line block ×3, first 2 shown]
	v_fmac_f32_e32 v11, 0x3f737871, v2
	v_fmac_f32_e32 v8, 0xbf167918, v4
	v_add_f32_e32 v6, v6, v14
	v_fmac_f32_e32 v11, 0x3f167918, v4
	v_fmac_f32_e32 v8, 0x3e9e377a, v6
	;; [unrolled: 1-line block ×3, first 2 shown]
	v_add_f32_e32 v6, v5, v19
	v_fmac_f32_e32 v45, -0.5, v6
	v_mov_b32_e32 v14, v45
	v_fmac_f32_e32 v14, 0x3f737871, v4
	v_sub_f32_e32 v5, v9, v5
	v_sub_f32_e32 v6, v13, v19
	v_fmac_f32_e32 v45, 0xbf737871, v4
	v_fmac_f32_e32 v14, 0xbf167918, v2
	v_add_f32_e32 v5, v5, v6
	v_fmac_f32_e32 v45, 0x3f167918, v2
	v_fmac_f32_e32 v14, 0x3e9e377a, v5
	;; [unrolled: 1-line block ×3, first 2 shown]
	v_mul_f32_e32 v5, 0x3e9e377a, v16
	v_fma_f32 v19, v45, s5, -v5
	v_mul_f32_e32 v5, 0x3f4f1bbd, v3
	v_mul_f32_e32 v13, 0x3f167918, v8
	;; [unrolled: 1-line block ×3, first 2 shown]
	v_fma_f32 v35, v11, s4, -v5
	v_mul_f32_e32 v5, 0x3e9e377a, v45
	v_fmac_f32_e32 v13, 0x3f4f1bbd, v7
	v_mul_f32_e32 v18, 0x3f737871, v14
	v_fmac_f32_e32 v20, 0x3f4f1bbd, v8
	v_mul_f32_e32 v27, 0xbf737871, v10
	v_fma_f32 v36, v16, s1, -v5
	v_mul_f32_e32 v5, 0x3f4f1bbd, v11
	v_add_f32_e32 v2, v26, v12
	v_add_f32_e32 v4, v24, v13
	v_fmac_f32_e32 v18, 0x3e9e377a, v10
	v_fmac_f32_e32 v27, 0x3e9e377a, v14
	v_fma_f32 v37, v3, s0, -v5
	v_add_f32_e32 v3, v21, v15
	v_add_f32_e32 v5, v17, v20
	v_add_f32_e32 v6, v25, v18
	v_add_f32_e32 v8, v0, v19
	v_add_f32_e32 v10, v34, v35
	v_add_f32_e32 v7, v23, v27
	v_add_f32_e32 v9, v1, v36
	v_add_f32_e32 v11, v22, v37
	v_sub_f32_e32 v12, v26, v12
	v_sub_f32_e32 v14, v24, v13
	;; [unrolled: 1-line block ×10, first 2 shown]
	s_barrier
	ds_write2_b64 v41, v[2:3], v[4:5] offset1:16
	ds_write2_b64 v41, v[6:7], v[8:9] offset0:32 offset1:48
	ds_write2_b64 v41, v[10:11], v[12:13] offset0:64 offset1:80
	;; [unrolled: 1-line block ×4, first 2 shown]
	s_waitcnt lgkmcnt(0)
	s_barrier
	ds_read_b64 v[2:3], v39
	v_sub_u32_e32 v4, v38, v40
	v_cmp_ne_u32_e64 s[0:1], 0, v33
                                        ; implicit-def: $vgpr0
                                        ; implicit-def: $vgpr5
                                        ; implicit-def: $vgpr6
	s_and_saveexec_b64 s[4:5], s[0:1]
	s_xor_b64 s[4:5], exec, s[4:5]
	s_cbranch_execz .LBB0_17
; %bb.16:
	v_mov_b32_e32 v34, 0
	v_lshlrev_b64 v[0:1], 3, v[33:34]
	v_mov_b32_e32 v5, s13
	v_add_co_u32_e64 v0, s[0:1], s12, v0
	v_addc_co_u32_e64 v1, s[0:1], v5, v1, s[0:1]
	global_load_dwordx2 v[7:8], v[0:1], off offset:1152
	ds_read_b64 v[0:1], v4 offset:1280
	s_waitcnt lgkmcnt(0)
	v_add_f32_e32 v9, v0, v2
	v_sub_f32_e32 v0, v2, v0
	v_add_f32_e32 v5, v1, v3
	v_sub_f32_e32 v1, v3, v1
	v_mul_f32_e32 v3, 0.5, v0
	v_mul_f32_e32 v2, 0.5, v5
	;; [unrolled: 1-line block ×3, first 2 shown]
	s_waitcnt vmcnt(0)
	v_mul_f32_e32 v1, v8, v3
	v_fma_f32 v6, v2, v8, v0
	v_fma_f32 v8, v2, v8, -v0
	v_fma_f32 v5, 0.5, v9, v1
	v_fma_f32 v0, v9, 0.5, -v1
	v_fma_f32 v6, -v7, v3, v6
	v_fmac_f32_e32 v5, v7, v2
	v_fma_f32 v0, -v7, v2, v0
	v_fma_f32 v1, -v7, v3, v8
                                        ; implicit-def: $vgpr2_vgpr3
.LBB0_17:
	s_andn2_saveexec_b64 s[0:1], s[4:5]
	s_cbranch_execz .LBB0_19
; %bb.18:
	ds_read_b32 v1, v38 offset:644
	v_mov_b32_e32 v33, 0
	s_waitcnt lgkmcnt(1)
	v_add_f32_e32 v5, v2, v3
	v_sub_f32_e32 v0, v2, v3
	v_mov_b32_e32 v34, 0
	s_waitcnt lgkmcnt(0)
	v_xor_b32_e32 v1, 0x80000000, v1
	v_mov_b32_e32 v6, 0
	ds_write_b32 v38, v1 offset:644
	v_mov_b32_e32 v1, 0
.LBB0_19:
	s_or_b64 exec, exec, s[0:1]
	s_add_u32 s0, s12, 0x480
	s_waitcnt lgkmcnt(0)
	v_lshlrev_b64 v[2:3], 3, v[33:34]
	s_addc_u32 s1, s13, 0
	v_mov_b32_e32 v7, s1
	v_add_co_u32_e64 v2, s[0:1], s0, v2
	v_addc_co_u32_e64 v3, s[0:1], v7, v3, s[0:1]
	global_load_dwordx2 v[7:8], v[2:3], off offset:128
	global_load_dwordx2 v[9:10], v[2:3], off offset:256
	;; [unrolled: 1-line block ×3, first 2 shown]
	ds_write2_b32 v39, v5, v6 offset1:1
	ds_write_b64 v4, v[0:1] offset:1280
	ds_read_b64 v[0:1], v39 offset:128
	ds_read_b64 v[5:6], v4 offset:1152
	global_load_dwordx2 v[2:3], v[2:3], off offset:512
	s_waitcnt lgkmcnt(0)
	v_add_f32_e32 v13, v0, v5
	v_sub_f32_e32 v0, v0, v5
	v_add_f32_e32 v14, v1, v6
	v_sub_f32_e32 v1, v1, v6
	v_mul_f32_e32 v0, 0.5, v0
	v_mul_f32_e32 v5, 0.5, v14
	;; [unrolled: 1-line block ×3, first 2 shown]
	s_waitcnt vmcnt(3)
	v_mul_f32_e32 v6, v8, v0
	v_fma_f32 v14, v5, v8, v1
	v_fma_f32 v1, v5, v8, -v1
	v_fma_f32 v8, 0.5, v13, v6
	v_fma_f32 v14, -v7, v0, v14
	v_fma_f32 v6, v13, 0.5, -v6
	v_fmac_f32_e32 v8, v7, v5
	v_fma_f32 v1, -v7, v0, v1
	v_fma_f32 v0, -v7, v5, v6
	ds_write2_b32 v39, v8, v14 offset0:32 offset1:33
	ds_write_b64 v4, v[0:1] offset:1152
	ds_read_b64 v[0:1], v39 offset:256
	ds_read_b64 v[5:6], v4 offset:1024
	s_waitcnt lgkmcnt(0)
	v_add_f32_e32 v7, v0, v5
	v_sub_f32_e32 v0, v0, v5
	v_add_f32_e32 v8, v1, v6
	v_sub_f32_e32 v1, v1, v6
	v_mul_f32_e32 v0, 0.5, v0
	v_mul_f32_e32 v5, 0.5, v8
	;; [unrolled: 1-line block ×3, first 2 shown]
	s_waitcnt vmcnt(2)
	v_mul_f32_e32 v6, v10, v0
	v_fma_f32 v8, v5, v10, v1
	v_fma_f32 v1, v5, v10, -v1
	v_fma_f32 v10, 0.5, v7, v6
	v_fma_f32 v8, -v9, v0, v8
	v_fma_f32 v6, v7, 0.5, -v6
	v_fmac_f32_e32 v10, v9, v5
	v_fma_f32 v1, -v9, v0, v1
	v_fma_f32 v0, -v9, v5, v6
	ds_write2_b32 v39, v10, v8 offset0:64 offset1:65
	ds_write_b64 v4, v[0:1] offset:1024
	ds_read_b64 v[0:1], v39 offset:384
	ds_read_b64 v[5:6], v4 offset:896
	s_waitcnt lgkmcnt(0)
	v_add_f32_e32 v7, v0, v5
	v_sub_f32_e32 v0, v0, v5
	v_add_f32_e32 v8, v1, v6
	v_sub_f32_e32 v1, v1, v6
	v_mul_f32_e32 v0, 0.5, v0
	v_mul_f32_e32 v5, 0.5, v8
	;; [unrolled: 1-line block ×3, first 2 shown]
	s_waitcnt vmcnt(1)
	v_mul_f32_e32 v6, v12, v0
	v_fma_f32 v8, v5, v12, v1
	v_fma_f32 v9, 0.5, v7, v6
	v_fma_f32 v1, v5, v12, -v1
	v_fma_f32 v8, -v11, v0, v8
	v_fma_f32 v6, v7, 0.5, -v6
	v_fmac_f32_e32 v9, v11, v5
	v_fma_f32 v1, -v11, v0, v1
	v_fma_f32 v0, -v11, v5, v6
	ds_write2_b32 v39, v9, v8 offset0:96 offset1:97
	ds_write_b64 v4, v[0:1] offset:896
	ds_read_b64 v[0:1], v39 offset:512
	ds_read_b64 v[5:6], v4 offset:768
	s_waitcnt lgkmcnt(0)
	v_add_f32_e32 v7, v0, v5
	v_sub_f32_e32 v0, v0, v5
	v_add_f32_e32 v8, v1, v6
	v_sub_f32_e32 v1, v1, v6
	v_mul_f32_e32 v0, 0.5, v0
	v_mul_f32_e32 v5, 0.5, v8
	;; [unrolled: 1-line block ×3, first 2 shown]
	s_waitcnt vmcnt(0)
	v_mul_f32_e32 v6, v3, v0
	v_fma_f32 v8, v5, v3, v1
	v_fma_f32 v1, v5, v3, -v1
	v_fma_f32 v3, 0.5, v7, v6
	v_fma_f32 v8, -v2, v0, v8
	v_fma_f32 v6, v7, 0.5, -v6
	v_fmac_f32_e32 v3, v2, v5
	v_fma_f32 v1, -v2, v0, v1
	v_fma_f32 v0, -v2, v5, v6
	ds_write2_b32 v39, v3, v8 offset0:128 offset1:129
	ds_write_b64 v4, v[0:1] offset:768
	s_waitcnt lgkmcnt(0)
	s_barrier
	s_and_saveexec_b64 s[0:1], vcc
	s_cbranch_execz .LBB0_22
; %bb.20:
	v_mul_lo_u32 v2, s3, v30
	v_mul_lo_u32 v3, s2, v31
	v_mad_u64_u32 v[0:1], s[0:1], s2, v30, 0
	v_mov_b32_e32 v7, s11
	v_mov_b32_e32 v33, 0
	v_add3_u32 v1, v1, v3, v2
	v_lshlrev_b64 v[0:1], 3, v[0:1]
	v_lshl_add_u32 v2, v32, 3, v38
	v_add_co_u32_e32 v8, vcc, s10, v0
	v_addc_co_u32_e32 v7, vcc, v7, v1, vcc
	v_lshlrev_b64 v[0:1], 3, v[28:29]
	ds_read2_b64 v[3:6], v2 offset1:16
	v_add_co_u32_e32 v0, vcc, v8, v0
	v_addc_co_u32_e32 v1, vcc, v7, v1, vcc
	v_lshlrev_b64 v[7:8], 3, v[32:33]
	v_add_co_u32_e32 v7, vcc, v0, v7
	v_addc_co_u32_e32 v8, vcc, v1, v8, vcc
	s_waitcnt lgkmcnt(0)
	global_store_dwordx2 v[7:8], v[3:4], off
	v_add_u32_e32 v3, 16, v32
	v_mov_b32_e32 v4, v33
	v_lshlrev_b64 v[3:4], 3, v[3:4]
	v_add_u32_e32 v7, 32, v32
	v_add_co_u32_e32 v3, vcc, v0, v3
	v_addc_co_u32_e32 v4, vcc, v1, v4, vcc
	global_store_dwordx2 v[3:4], v[5:6], off
	v_mov_b32_e32 v8, v33
	ds_read2_b64 v[3:6], v2 offset0:32 offset1:48
	v_lshlrev_b64 v[7:8], 3, v[7:8]
	v_add_co_u32_e32 v7, vcc, v0, v7
	v_addc_co_u32_e32 v8, vcc, v1, v8, vcc
	s_waitcnt lgkmcnt(0)
	global_store_dwordx2 v[7:8], v[3:4], off
	v_add_u32_e32 v3, 48, v32
	v_mov_b32_e32 v4, v33
	v_lshlrev_b64 v[3:4], 3, v[3:4]
	v_add_u32_e32 v7, 64, v32
	v_add_co_u32_e32 v3, vcc, v0, v3
	v_addc_co_u32_e32 v4, vcc, v1, v4, vcc
	global_store_dwordx2 v[3:4], v[5:6], off
	v_mov_b32_e32 v8, v33
	ds_read2_b64 v[3:6], v2 offset0:64 offset1:80
	;; [unrolled: 14-line block ×4, first 2 shown]
	v_lshlrev_b64 v[7:8], 3, v[7:8]
	v_add_co_u32_e32 v7, vcc, v0, v7
	v_addc_co_u32_e32 v8, vcc, v1, v8, vcc
	s_waitcnt lgkmcnt(0)
	global_store_dwordx2 v[7:8], v[3:4], off
	v_add_u32_e32 v3, 0x90, v32
	v_mov_b32_e32 v4, v33
	v_lshlrev_b64 v[3:4], 3, v[3:4]
	v_add_co_u32_e32 v3, vcc, v0, v3
	v_addc_co_u32_e32 v4, vcc, v1, v4, vcc
	v_cmp_eq_u32_e32 vcc, 15, v32
	global_store_dwordx2 v[3:4], v[5:6], off
	s_and_b64 exec, exec, vcc
	s_cbranch_execz .LBB0_22
; %bb.21:
	ds_read_b64 v[2:3], v2 offset:1160
	s_waitcnt lgkmcnt(0)
	global_store_dwordx2 v[0:1], v[2:3], off offset:1280
.LBB0_22:
	s_endpgm
	.section	.rodata,"a",@progbits
	.p2align	6, 0x0
	.amdhsa_kernel fft_rtc_fwd_len160_factors_16_10_wgs_256_tpt_16_halfLds_sp_op_CI_CI_unitstride_sbrr_R2C_dirReg
		.amdhsa_group_segment_fixed_size 0
		.amdhsa_private_segment_fixed_size 0
		.amdhsa_kernarg_size 104
		.amdhsa_user_sgpr_count 6
		.amdhsa_user_sgpr_private_segment_buffer 1
		.amdhsa_user_sgpr_dispatch_ptr 0
		.amdhsa_user_sgpr_queue_ptr 0
		.amdhsa_user_sgpr_kernarg_segment_ptr 1
		.amdhsa_user_sgpr_dispatch_id 0
		.amdhsa_user_sgpr_flat_scratch_init 0
		.amdhsa_user_sgpr_private_segment_size 0
		.amdhsa_uses_dynamic_stack 0
		.amdhsa_system_sgpr_private_segment_wavefront_offset 0
		.amdhsa_system_sgpr_workgroup_id_x 1
		.amdhsa_system_sgpr_workgroup_id_y 0
		.amdhsa_system_sgpr_workgroup_id_z 0
		.amdhsa_system_sgpr_workgroup_info 0
		.amdhsa_system_vgpr_workitem_id 0
		.amdhsa_next_free_vgpr 51
		.amdhsa_next_free_sgpr 28
		.amdhsa_reserve_vcc 1
		.amdhsa_reserve_flat_scratch 0
		.amdhsa_float_round_mode_32 0
		.amdhsa_float_round_mode_16_64 0
		.amdhsa_float_denorm_mode_32 3
		.amdhsa_float_denorm_mode_16_64 3
		.amdhsa_dx10_clamp 1
		.amdhsa_ieee_mode 1
		.amdhsa_fp16_overflow 0
		.amdhsa_exception_fp_ieee_invalid_op 0
		.amdhsa_exception_fp_denorm_src 0
		.amdhsa_exception_fp_ieee_div_zero 0
		.amdhsa_exception_fp_ieee_overflow 0
		.amdhsa_exception_fp_ieee_underflow 0
		.amdhsa_exception_fp_ieee_inexact 0
		.amdhsa_exception_int_div_zero 0
	.end_amdhsa_kernel
	.text
.Lfunc_end0:
	.size	fft_rtc_fwd_len160_factors_16_10_wgs_256_tpt_16_halfLds_sp_op_CI_CI_unitstride_sbrr_R2C_dirReg, .Lfunc_end0-fft_rtc_fwd_len160_factors_16_10_wgs_256_tpt_16_halfLds_sp_op_CI_CI_unitstride_sbrr_R2C_dirReg
                                        ; -- End function
	.section	.AMDGPU.csdata,"",@progbits
; Kernel info:
; codeLenInByte = 5416
; NumSgprs: 32
; NumVgprs: 51
; ScratchSize: 0
; MemoryBound: 0
; FloatMode: 240
; IeeeMode: 1
; LDSByteSize: 0 bytes/workgroup (compile time only)
; SGPRBlocks: 3
; VGPRBlocks: 12
; NumSGPRsForWavesPerEU: 32
; NumVGPRsForWavesPerEU: 51
; Occupancy: 4
; WaveLimiterHint : 1
; COMPUTE_PGM_RSRC2:SCRATCH_EN: 0
; COMPUTE_PGM_RSRC2:USER_SGPR: 6
; COMPUTE_PGM_RSRC2:TRAP_HANDLER: 0
; COMPUTE_PGM_RSRC2:TGID_X_EN: 1
; COMPUTE_PGM_RSRC2:TGID_Y_EN: 0
; COMPUTE_PGM_RSRC2:TGID_Z_EN: 0
; COMPUTE_PGM_RSRC2:TIDIG_COMP_CNT: 0
	.type	__hip_cuid_ce91ae59ba07cdc1,@object ; @__hip_cuid_ce91ae59ba07cdc1
	.section	.bss,"aw",@nobits
	.globl	__hip_cuid_ce91ae59ba07cdc1
__hip_cuid_ce91ae59ba07cdc1:
	.byte	0                               ; 0x0
	.size	__hip_cuid_ce91ae59ba07cdc1, 1

	.ident	"AMD clang version 19.0.0git (https://github.com/RadeonOpenCompute/llvm-project roc-6.4.0 25133 c7fe45cf4b819c5991fe208aaa96edf142730f1d)"
	.section	".note.GNU-stack","",@progbits
	.addrsig
	.addrsig_sym __hip_cuid_ce91ae59ba07cdc1
	.amdgpu_metadata
---
amdhsa.kernels:
  - .args:
      - .actual_access:  read_only
        .address_space:  global
        .offset:         0
        .size:           8
        .value_kind:     global_buffer
      - .offset:         8
        .size:           8
        .value_kind:     by_value
      - .actual_access:  read_only
        .address_space:  global
        .offset:         16
        .size:           8
        .value_kind:     global_buffer
      - .actual_access:  read_only
        .address_space:  global
        .offset:         24
        .size:           8
        .value_kind:     global_buffer
      - .actual_access:  read_only
        .address_space:  global
        .offset:         32
        .size:           8
        .value_kind:     global_buffer
      - .offset:         40
        .size:           8
        .value_kind:     by_value
      - .actual_access:  read_only
        .address_space:  global
        .offset:         48
        .size:           8
        .value_kind:     global_buffer
      - .actual_access:  read_only
        .address_space:  global
        .offset:         56
        .size:           8
        .value_kind:     global_buffer
      - .offset:         64
        .size:           4
        .value_kind:     by_value
      - .actual_access:  read_only
        .address_space:  global
        .offset:         72
        .size:           8
        .value_kind:     global_buffer
      - .actual_access:  read_only
        .address_space:  global
        .offset:         80
        .size:           8
        .value_kind:     global_buffer
      - .actual_access:  read_only
        .address_space:  global
        .offset:         88
        .size:           8
        .value_kind:     global_buffer
      - .actual_access:  write_only
        .address_space:  global
        .offset:         96
        .size:           8
        .value_kind:     global_buffer
    .group_segment_fixed_size: 0
    .kernarg_segment_align: 8
    .kernarg_segment_size: 104
    .language:       OpenCL C
    .language_version:
      - 2
      - 0
    .max_flat_workgroup_size: 256
    .name:           fft_rtc_fwd_len160_factors_16_10_wgs_256_tpt_16_halfLds_sp_op_CI_CI_unitstride_sbrr_R2C_dirReg
    .private_segment_fixed_size: 0
    .sgpr_count:     32
    .sgpr_spill_count: 0
    .symbol:         fft_rtc_fwd_len160_factors_16_10_wgs_256_tpt_16_halfLds_sp_op_CI_CI_unitstride_sbrr_R2C_dirReg.kd
    .uniform_work_group_size: 1
    .uses_dynamic_stack: false
    .vgpr_count:     51
    .vgpr_spill_count: 0
    .wavefront_size: 64
amdhsa.target:   amdgcn-amd-amdhsa--gfx906
amdhsa.version:
  - 1
  - 2
...

	.end_amdgpu_metadata
